;; amdgpu-corpus repo=ROCm/rocFFT kind=compiled arch=gfx906 opt=O3
	.text
	.amdgcn_target "amdgcn-amd-amdhsa--gfx906"
	.amdhsa_code_object_version 6
	.protected	bluestein_single_back_len648_dim1_sp_op_CI_CI ; -- Begin function bluestein_single_back_len648_dim1_sp_op_CI_CI
	.globl	bluestein_single_back_len648_dim1_sp_op_CI_CI
	.p2align	8
	.type	bluestein_single_back_len648_dim1_sp_op_CI_CI,@function
bluestein_single_back_len648_dim1_sp_op_CI_CI: ; @bluestein_single_back_len648_dim1_sp_op_CI_CI
; %bb.0:
	s_load_dwordx4 s[0:3], s[4:5], 0x28
	v_mul_u32_u24_e32 v1, 0x130, v0
	v_add_u32_sdwa v32, s6, v1 dst_sel:DWORD dst_unused:UNUSED_PAD src0_sel:DWORD src1_sel:WORD_1
	v_mov_b32_e32 v33, 0
	s_waitcnt lgkmcnt(0)
	v_cmp_gt_u64_e32 vcc, s[0:1], v[32:33]
	s_and_saveexec_b64 s[0:1], vcc
	s_cbranch_execz .LBB0_15
; %bb.1:
	s_load_dwordx2 s[10:11], s[4:5], 0x0
	s_load_dwordx2 s[8:9], s[4:5], 0x38
	s_movk_i32 s0, 0xd8
	v_mul_lo_u16_sdwa v1, v1, s0 dst_sel:DWORD dst_unused:UNUSED_PAD src0_sel:WORD_1 src1_sel:DWORD
	v_sub_u16_e32 v34, v0, v1
	s_movk_i32 s0, 0x51
	v_cmp_gt_u16_e64 s[0:1], s0, v34
	v_lshlrev_b32_e32 v33, 3, v34
	s_and_saveexec_b64 s[6:7], s[0:1]
	s_cbranch_execz .LBB0_3
; %bb.2:
	s_load_dwordx2 s[12:13], s[4:5], 0x18
	s_waitcnt lgkmcnt(0)
	s_load_dwordx4 s[12:15], s[12:13], 0x0
	s_waitcnt lgkmcnt(0)
	v_mad_u64_u32 v[0:1], s[16:17], s14, v32, 0
	v_mad_u64_u32 v[2:3], s[16:17], s12, v34, 0
	;; [unrolled: 1-line block ×4, first 2 shown]
	v_mov_b32_e32 v1, v4
	v_lshlrev_b64 v[0:1], 3, v[0:1]
	v_mov_b32_e32 v3, v5
	v_mov_b32_e32 v6, s3
	v_lshlrev_b64 v[2:3], 3, v[2:3]
	v_add_co_u32_e32 v0, vcc, s2, v0
	v_addc_co_u32_e32 v1, vcc, v6, v1, vcc
	v_add_co_u32_e32 v0, vcc, v0, v2
	s_mul_i32 s2, s13, 0x288
	s_mul_hi_u32 s3, s12, 0x288
	v_addc_co_u32_e32 v1, vcc, v1, v3, vcc
	s_add_i32 s2, s3, s2
	s_mul_i32 s3, s12, 0x288
	global_load_dwordx2 v[2:3], v[0:1], off
	v_mov_b32_e32 v4, s2
	v_add_co_u32_e32 v0, vcc, s3, v0
	v_addc_co_u32_e32 v1, vcc, v1, v4, vcc
	v_mov_b32_e32 v4, s11
	v_add_co_u32_e32 v5, vcc, s10, v33
	v_addc_co_u32_e32 v6, vcc, 0, v4, vcc
	v_add_co_u32_e32 v4, vcc, 0x1000, v5
	v_addc_co_u32_e32 v5, vcc, 0, v6, vcc
	v_mov_b32_e32 v7, s2
	v_add_co_u32_e32 v6, vcc, s3, v0
	v_addc_co_u32_e32 v7, vcc, v1, v7, vcc
	v_mov_b32_e32 v9, s2
	v_add_co_u32_e32 v8, vcc, s3, v6
	v_addc_co_u32_e32 v9, vcc, v7, v9, vcc
	global_load_dwordx2 v[10:11], v33, s[10:11] offset:648
	global_load_dwordx2 v[12:13], v33, s[10:11] offset:1296
	global_load_dwordx2 v[14:15], v33, s[10:11]
	global_load_dwordx2 v[16:17], v[4:5], off offset:440
	global_load_dwordx2 v[18:19], v[0:1], off
	global_load_dwordx2 v[20:21], v[6:7], off
	global_load_dwordx2 v[22:23], v[8:9], off
	global_load_dwordx2 v[24:25], v33, s[10:11] offset:1944
	global_load_dwordx2 v[26:27], v33, s[10:11] offset:2592
	;; [unrolled: 1-line block ×4, first 2 shown]
	v_mov_b32_e32 v1, s2
	v_add_co_u32_e32 v0, vcc, s3, v8
	v_addc_co_u32_e32 v1, vcc, v9, v1, vcc
	global_load_dwordx2 v[4:5], v[0:1], off
	v_mov_b32_e32 v6, s2
	v_add_co_u32_e32 v0, vcc, s3, v0
	v_addc_co_u32_e32 v1, vcc, v1, v6, vcc
	v_mov_b32_e32 v8, s2
	global_load_dwordx2 v[6:7], v[0:1], off
	v_add_co_u32_e32 v0, vcc, s3, v0
	v_addc_co_u32_e32 v1, vcc, v1, v8, vcc
	v_mov_b32_e32 v35, s2
	global_load_dwordx2 v[8:9], v[0:1], off
	v_add_co_u32_e32 v0, vcc, s3, v0
	v_addc_co_u32_e32 v1, vcc, v1, v35, vcc
	global_load_dwordx2 v[0:1], v[0:1], off
	s_waitcnt vmcnt(12)
	v_mul_f32_e32 v36, v2, v15
	v_mul_f32_e32 v35, v3, v15
	v_fma_f32 v36, v3, v14, -v36
	v_fmac_f32_e32 v35, v2, v14
	s_waitcnt vmcnt(10)
	v_mul_f32_e32 v3, v18, v11
	v_mul_f32_e32 v2, v19, v11
	v_fma_f32 v3, v19, v10, -v3
	v_fmac_f32_e32 v2, v18, v10
	s_waitcnt vmcnt(9)
	v_mul_f32_e32 v10, v21, v13
	v_mul_f32_e32 v11, v20, v13
	ds_write2_b64 v33, v[35:36], v[2:3] offset1:81
	s_waitcnt vmcnt(7)
	v_mul_f32_e32 v3, v22, v25
	v_mul_f32_e32 v2, v23, v25
	v_fmac_f32_e32 v10, v20, v12
	v_fma_f32 v11, v21, v12, -v11
	v_fma_f32 v3, v23, v24, -v3
	v_fmac_f32_e32 v2, v22, v24
	ds_write2_b64 v33, v[10:11], v[2:3] offset0:162 offset1:243
	s_waitcnt vmcnt(3)
	v_mul_f32_e32 v2, v5, v27
	v_mul_f32_e32 v12, v4, v27
	v_fmac_f32_e32 v2, v4, v26
	s_waitcnt vmcnt(2)
	v_mul_f32_e32 v4, v6, v29
	v_fma_f32 v3, v5, v26, -v12
	v_fma_f32 v5, v7, v28, -v4
	v_mul_f32_e32 v4, v7, v29
	v_fmac_f32_e32 v4, v6, v28
	v_add_u32_e32 v6, 0x800, v33
	ds_write2_b64 v6, v[2:3], v[4:5] offset0:68 offset1:149
	s_waitcnt vmcnt(1)
	v_mul_f32_e32 v2, v9, v31
	v_mul_f32_e32 v3, v8, v31
	v_fmac_f32_e32 v2, v8, v30
	v_fma_f32 v3, v9, v30, -v3
	s_waitcnt vmcnt(0)
	v_mul_f32_e32 v4, v1, v17
	v_fmac_f32_e32 v4, v0, v16
	v_mul_f32_e32 v0, v0, v17
	v_fma_f32 v5, v1, v16, -v0
	v_add_u32_e32 v0, 0xc00, v33
	ds_write2_b64 v0, v[2:3], v[4:5] offset0:102 offset1:183
.LBB0_3:
	s_or_b64 exec, exec, s[6:7]
	s_load_dwordx2 s[6:7], s[4:5], 0x20
	s_load_dwordx2 s[2:3], s[4:5], 0x8
	s_waitcnt lgkmcnt(0)
	s_barrier
	s_waitcnt lgkmcnt(0)
                                        ; implicit-def: $vgpr10
                                        ; implicit-def: $vgpr14
                                        ; implicit-def: $vgpr2
                                        ; implicit-def: $vgpr6
	s_and_saveexec_b64 s[4:5], s[0:1]
	s_cbranch_execz .LBB0_5
; %bb.4:
	v_add_u32_e32 v8, 0x800, v33
	ds_read2_b64 v[4:7], v33 offset1:81
	ds_read2_b64 v[0:3], v33 offset0:162 offset1:243
	ds_read2_b64 v[12:15], v8 offset0:68 offset1:149
	v_add_u32_e32 v8, 0xc00, v33
	ds_read2_b64 v[8:11], v8 offset0:102 offset1:183
.LBB0_5:
	s_or_b64 exec, exec, s[4:5]
	s_waitcnt lgkmcnt(1)
	v_sub_f32_e32 v12, v4, v12
	v_sub_f32_e32 v13, v5, v13
	s_waitcnt lgkmcnt(0)
	v_sub_f32_e32 v8, v0, v8
	v_sub_f32_e32 v9, v1, v9
	v_fma_f32 v4, v4, 2.0, -v12
	v_fma_f32 v5, v5, 2.0, -v13
	v_sub_f32_e32 v11, v3, v11
	v_fma_f32 v0, v0, 2.0, -v8
	v_fma_f32 v16, v1, 2.0, -v9
	v_sub_f32_e32 v14, v6, v14
	v_sub_f32_e32 v15, v7, v15
	;; [unrolled: 1-line block ×3, first 2 shown]
	v_fma_f32 v19, v3, 2.0, -v11
	v_sub_f32_e32 v1, v4, v0
	v_sub_f32_e32 v3, v5, v16
	v_fma_f32 v6, v6, 2.0, -v14
	v_fma_f32 v7, v7, 2.0, -v15
	;; [unrolled: 1-line block ×5, first 2 shown]
	v_sub_f32_e32 v4, v12, v9
	v_add_f32_e32 v5, v8, v13
	v_fma_f32 v16, v12, 2.0, -v4
	v_fma_f32 v17, v13, 2.0, -v5
	v_sub_f32_e32 v13, v6, v18
	v_sub_f32_e32 v12, v7, v19
	v_sub_f32_e32 v18, v14, v11
	v_add_f32_e32 v19, v10, v15
	v_fma_f32 v14, v14, 2.0, -v18
	v_fma_f32 v15, v15, 2.0, -v19
	v_mov_b32_e32 v10, v16
	v_mov_b32_e32 v11, v17
	v_fmac_f32_e32 v10, 0xbf3504f3, v14
	v_fmac_f32_e32 v11, 0xbf3504f3, v15
	;; [unrolled: 1-line block ×4, first 2 shown]
	v_mov_b32_e32 v14, v4
	v_mov_b32_e32 v15, v5
	v_fmac_f32_e32 v14, 0x3f3504f3, v18
	v_fmac_f32_e32 v15, 0x3f3504f3, v19
	v_fma_f32 v6, v6, 2.0, -v13
	v_fma_f32 v7, v7, 2.0, -v12
	v_fmac_f32_e32 v14, 0xbf3504f3, v19
	v_fmac_f32_e32 v15, 0x3f3504f3, v18
	v_sub_f32_e32 v8, v0, v6
	v_sub_f32_e32 v9, v2, v7
	;; [unrolled: 1-line block ×3, first 2 shown]
	v_add_f32_e32 v13, v13, v3
	v_fma_f32 v6, v4, 2.0, -v14
	v_fma_f32 v7, v5, 2.0, -v15
	v_lshlrev_b16_e32 v35, 3, v34
	s_barrier
	s_and_saveexec_b64 s[4:5], s[0:1]
	s_cbranch_execz .LBB0_7
; %bb.6:
	v_fma_f32 v19, v17, 2.0, -v11
	v_fma_f32 v18, v16, 2.0, -v10
	;; [unrolled: 1-line block ×4, first 2 shown]
	v_lshlrev_b32_e32 v0, 3, v35
	v_fma_f32 v5, v3, 2.0, -v13
	v_fma_f32 v4, v1, 2.0, -v12
	ds_write_b128 v0, v[16:19]
	ds_write_b128 v0, v[4:7] offset:16
	ds_write_b128 v0, v[8:11] offset:32
	;; [unrolled: 1-line block ×3, first 2 shown]
.LBB0_7:
	s_or_b64 exec, exec, s[4:5]
	v_and_b32_e32 v20, 7, v34
	v_lshlrev_b32_e32 v0, 4, v20
	s_load_dwordx4 s[4:7], s[6:7], 0x0
	s_waitcnt lgkmcnt(0)
	s_barrier
	global_load_dwordx4 v[0:3], v0, s[2:3]
	ds_read2_b64 v[16:19], v33 offset1:216
	ds_read_b64 v[4:5], v33 offset:3456
	v_lshrrev_b32_e32 v21, 3, v34
	s_movk_i32 s12, 0xab
	v_mul_u32_u24_e32 v21, 24, v21
	v_mul_lo_u16_sdwa v22, v34, s12 dst_sel:DWORD dst_unused:UNUSED_PAD src0_sel:BYTE_0 src1_sel:DWORD
	v_or_b32_e32 v20, v21, v20
	v_lshrrev_b16_e32 v21, 12, v22
	v_lshlrev_b32_e32 v36, 3, v20
	v_mul_lo_u16_e32 v20, 24, v21
	v_sub_u16_e32 v20, v34, v20
	v_and_b32_e32 v20, 0xff, v20
	v_lshlrev_b32_e32 v22, 4, v20
	s_waitcnt vmcnt(0) lgkmcnt(0)
	s_barrier
	v_mul_f32_e32 v23, v19, v1
	v_mul_f32_e32 v24, v5, v3
	;; [unrolled: 1-line block ×4, first 2 shown]
	v_fma_f32 v24, v4, v2, -v24
	v_fmac_f32_e32 v25, v5, v2
	v_fma_f32 v4, v18, v0, -v23
	v_fmac_f32_e32 v26, v19, v0
	v_add_f32_e32 v5, v4, v24
	v_add_f32_e32 v18, v26, v25
	;; [unrolled: 1-line block ×3, first 2 shown]
	v_sub_f32_e32 v27, v4, v24
	v_fma_f32 v4, -0.5, v5, v16
	v_fma_f32 v5, -0.5, v18, v17
	v_add_f32_e32 v23, v17, v26
	v_sub_f32_e32 v26, v26, v25
	v_add_f32_e32 v16, v19, v24
	v_mov_b32_e32 v18, v4
	v_mov_b32_e32 v19, v5
	v_add_f32_e32 v17, v23, v25
	v_fmac_f32_e32 v4, 0xbf5db3d7, v26
	v_fmac_f32_e32 v5, 0x3f5db3d7, v27
	;; [unrolled: 1-line block ×4, first 2 shown]
	ds_write_b64 v36, v[4:5] offset:128
	ds_write2_b64 v36, v[16:17], v[18:19] offset1:8
	s_waitcnt lgkmcnt(0)
	s_barrier
	global_load_dwordx4 v[16:19], v22, s[2:3] offset:128
	v_mov_b32_e32 v4, 57
	v_mul_lo_u16_sdwa v4, v34, v4 dst_sel:DWORD dst_unused:UNUSED_PAD src0_sel:BYTE_0 src1_sel:DWORD
	v_lshrrev_b16_e32 v24, 12, v4
	v_mul_lo_u16_e32 v5, 0x48, v24
	v_mul_u32_u24_e32 v4, 0x48, v21
	v_sub_u16_e32 v5, v34, v5
	v_and_b32_e32 v25, 0xff, v5
	v_add_lshl_u32 v37, v4, v20, 3
	ds_read_b64 v[4:5], v33 offset:3456
	ds_read2_b64 v[20:23], v33 offset1:216
	v_lshlrev_b32_e32 v26, 4, v25
	s_waitcnt vmcnt(0) lgkmcnt(0)
	s_barrier
	v_mul_f32_e32 v27, v5, v19
	v_mul_f32_e32 v28, v4, v19
	;; [unrolled: 1-line block ×4, first 2 shown]
	v_fma_f32 v27, v4, v18, -v27
	v_fmac_f32_e32 v28, v5, v18
	v_fma_f32 v4, v22, v16, -v29
	v_fmac_f32_e32 v30, v23, v16
	v_add_f32_e32 v5, v4, v27
	v_add_f32_e32 v22, v30, v28
	;; [unrolled: 1-line block ×3, first 2 shown]
	v_sub_f32_e32 v31, v4, v27
	v_fma_f32 v4, -0.5, v5, v20
	v_fma_f32 v5, -0.5, v22, v21
	v_add_f32_e32 v29, v21, v30
	v_sub_f32_e32 v30, v30, v28
	v_add_f32_e32 v20, v23, v27
	v_mov_b32_e32 v22, v4
	v_mov_b32_e32 v23, v5
	v_add_f32_e32 v21, v29, v28
	v_fmac_f32_e32 v4, 0xbf5db3d7, v30
	v_fmac_f32_e32 v5, 0x3f5db3d7, v31
	;; [unrolled: 1-line block ×4, first 2 shown]
	ds_write_b64 v37, v[4:5] offset:384
	ds_write2_b64 v37, v[20:21], v[22:23] offset1:24
	s_waitcnt lgkmcnt(0)
	s_barrier
	global_load_dwordx4 v[20:23], v26, s[2:3] offset:512
	v_mul_u32_u24_e32 v4, 0xd8, v24
	v_add_lshl_u32 v38, v4, v25, 3
	ds_read_b64 v[4:5], v33 offset:3456
	ds_read2_b64 v[24:27], v33 offset1:216
	v_lshlrev_b32_e32 v28, 4, v34
	s_waitcnt vmcnt(0) lgkmcnt(0)
	s_barrier
	v_mul_f32_e32 v29, v5, v23
	v_mul_f32_e32 v30, v4, v23
	;; [unrolled: 1-line block ×4, first 2 shown]
	v_fma_f32 v29, v4, v22, -v29
	v_fmac_f32_e32 v30, v5, v22
	v_fma_f32 v4, v26, v20, -v31
	v_fmac_f32_e32 v39, v27, v20
	v_add_f32_e32 v5, v4, v29
	v_add_f32_e32 v26, v39, v30
	;; [unrolled: 1-line block ×3, first 2 shown]
	v_sub_f32_e32 v40, v4, v29
	v_fma_f32 v4, -0.5, v5, v24
	v_fma_f32 v5, -0.5, v26, v25
	v_add_f32_e32 v31, v25, v39
	v_sub_f32_e32 v39, v39, v30
	v_add_f32_e32 v24, v27, v29
	v_mov_b32_e32 v26, v4
	v_mov_b32_e32 v27, v5
	v_add_f32_e32 v25, v31, v30
	v_fmac_f32_e32 v4, 0xbf5db3d7, v39
	v_fmac_f32_e32 v5, 0x3f5db3d7, v40
	;; [unrolled: 1-line block ×4, first 2 shown]
	ds_write_b64 v38, v[4:5] offset:1152
	ds_write2_b64 v38, v[24:25], v[26:27] offset1:72
	s_waitcnt lgkmcnt(0)
	s_barrier
	global_load_dwordx4 v[24:27], v28, s[2:3] offset:1664
	ds_read_b64 v[4:5], v33 offset:3456
	ds_read2_b64 v[28:31], v33 offset1:216
	s_waitcnt vmcnt(0) lgkmcnt(1)
	v_mul_f32_e32 v39, v5, v27
	v_mul_f32_e32 v40, v4, v27
	s_waitcnt lgkmcnt(0)
	v_mul_f32_e32 v41, v31, v25
	v_mul_f32_e32 v42, v30, v25
	v_fma_f32 v39, v4, v26, -v39
	v_fmac_f32_e32 v40, v5, v26
	v_fma_f32 v4, v30, v24, -v41
	v_fmac_f32_e32 v42, v31, v24
	v_add_f32_e32 v5, v4, v39
	v_add_f32_e32 v30, v42, v40
	;; [unrolled: 1-line block ×3, first 2 shown]
	v_sub_f32_e32 v43, v4, v39
	v_fma_f32 v4, -0.5, v5, v28
	v_fma_f32 v5, -0.5, v30, v29
	v_add_f32_e32 v41, v29, v42
	v_sub_f32_e32 v42, v42, v40
	v_add_f32_e32 v28, v31, v39
	v_mov_b32_e32 v30, v4
	v_mov_b32_e32 v31, v5
	v_add_f32_e32 v29, v41, v40
	v_fmac_f32_e32 v4, 0xbf5db3d7, v42
	v_fmac_f32_e32 v5, 0x3f5db3d7, v43
	;; [unrolled: 1-line block ×4, first 2 shown]
	ds_write_b64 v33, v[4:5] offset:3456
	ds_write2_b64 v33, v[28:29], v[30:31] offset1:216
	s_waitcnt lgkmcnt(0)
	s_barrier
	s_and_saveexec_b64 s[2:3], s[0:1]
	s_cbranch_execz .LBB0_9
; %bb.8:
	v_add_co_u32_e32 v49, vcc, s10, v33
	v_mov_b32_e32 v39, s11
	v_addc_co_u32_e32 v50, vcc, 0, v39, vcc
	v_add_co_u32_e32 v43, vcc, 0x1440, v49
	v_addc_co_u32_e32 v44, vcc, 0, v50, vcc
	v_add_co_u32_e32 v41, vcc, 0x1000, v49
	v_addc_co_u32_e32 v42, vcc, 0, v50, vcc
	global_load_dwordx2 v[41:42], v[41:42], off offset:1088
	ds_read_b64 v[39:40], v33
	v_add_u32_e32 v51, 0x400, v33
	s_waitcnt vmcnt(0) lgkmcnt(0)
	v_mul_f32_e32 v45, v40, v42
	v_mul_f32_e32 v46, v39, v42
	v_fma_f32 v45, v39, v41, -v45
	v_fmac_f32_e32 v46, v40, v41
	ds_write_b64 v33, v[45:46]
	global_load_dwordx2 v[45:46], v[43:44], off offset:648
	ds_read2_b64 v[39:42], v33 offset0:81 offset1:162
	s_waitcnt vmcnt(0) lgkmcnt(0)
	v_mul_f32_e32 v47, v40, v46
	v_mul_f32_e32 v48, v39, v46
	v_fma_f32 v47, v39, v45, -v47
	v_fmac_f32_e32 v48, v40, v45
	global_load_dwordx2 v[39:40], v[43:44], off offset:1296
	s_waitcnt vmcnt(0)
	v_mul_f32_e32 v45, v42, v40
	v_mul_f32_e32 v46, v41, v40
	v_fma_f32 v45, v41, v39, -v45
	v_fmac_f32_e32 v46, v42, v39
	ds_write2_b64 v33, v[47:48], v[45:46] offset0:81 offset1:162
	global_load_dwordx2 v[45:46], v[43:44], off offset:1944
	ds_read2_b64 v[39:42], v51 offset0:115 offset1:196
	s_waitcnt vmcnt(0) lgkmcnt(0)
	v_mul_f32_e32 v47, v40, v46
	v_mul_f32_e32 v48, v39, v46
	v_fma_f32 v47, v39, v45, -v47
	v_fmac_f32_e32 v48, v40, v45
	global_load_dwordx2 v[39:40], v[43:44], off offset:2592
	s_waitcnt vmcnt(0)
	v_mul_f32_e32 v45, v42, v40
	v_mul_f32_e32 v46, v41, v40
	v_fma_f32 v45, v41, v39, -v45
	v_fmac_f32_e32 v46, v42, v39
	ds_write2_b64 v51, v[47:48], v[45:46] offset0:115 offset1:196
	global_load_dwordx2 v[45:46], v[43:44], off offset:3240
	v_add_u32_e32 v51, 0x800, v33
	ds_read2_b64 v[39:42], v51 offset0:149 offset1:230
	s_waitcnt vmcnt(0) lgkmcnt(0)
	v_mul_f32_e32 v47, v40, v46
	v_mul_f32_e32 v48, v39, v46
	v_fma_f32 v47, v39, v45, -v47
	v_fmac_f32_e32 v48, v40, v45
	global_load_dwordx2 v[39:40], v[43:44], off offset:3888
	s_waitcnt vmcnt(0)
	v_mul_f32_e32 v43, v42, v40
	v_fma_f32 v43, v41, v39, -v43
	v_mul_f32_e32 v44, v41, v40
	v_add_co_u32_e32 v41, vcc, 0x2000, v49
	v_fmac_f32_e32 v44, v42, v39
	v_addc_co_u32_e32 v42, vcc, 0, v50, vcc
	global_load_dwordx2 v[41:42], v[41:42], off offset:1528
	ds_read_b64 v[39:40], v33 offset:4536
	ds_write2_b64 v51, v[47:48], v[43:44] offset0:149 offset1:230
	s_waitcnt vmcnt(0) lgkmcnt(1)
	v_mul_f32_e32 v43, v40, v42
	v_mul_f32_e32 v44, v39, v42
	v_fma_f32 v43, v39, v41, -v43
	v_fmac_f32_e32 v44, v40, v41
	ds_write_b64 v33, v[43:44] offset:4536
.LBB0_9:
	s_or_b64 exec, exec, s[2:3]
	s_waitcnt lgkmcnt(0)
	s_barrier
	s_and_saveexec_b64 s[2:3], s[0:1]
	s_cbranch_execz .LBB0_11
; %bb.10:
	v_add_u32_e32 v8, 0x800, v33
	v_add_u32_e32 v12, 0xc00, v33
	ds_read2_b64 v[28:31], v33 offset1:81
	ds_read2_b64 v[4:7], v33 offset0:162 offset1:243
	ds_read2_b64 v[8:11], v8 offset0:68 offset1:149
	;; [unrolled: 1-line block ×3, first 2 shown]
.LBB0_11:
	s_or_b64 exec, exec, s[2:3]
	s_waitcnt lgkmcnt(0)
	s_barrier
	s_and_saveexec_b64 s[2:3], s[0:1]
	s_cbranch_execz .LBB0_13
; %bb.12:
	v_sub_f32_e32 v39, v29, v9
	v_sub_f32_e32 v9, v6, v14
	;; [unrolled: 1-line block ×6, first 2 shown]
	v_fma_f32 v48, v30, 2.0, -v44
	v_fma_f32 v6, v6, 2.0, -v9
	v_sub_f32_e32 v40, v39, v12
	v_sub_f32_e32 v49, v48, v6
	v_fma_f32 v50, v31, 2.0, -v41
	v_fma_f32 v6, v7, 2.0, -v43
	v_sub_f32_e32 v42, v41, v9
	v_mov_b32_e32 v11, v40
	v_add_f32_e32 v45, v43, v44
	v_sub_f32_e32 v43, v50, v6
	v_fma_f32 v6, v39, 2.0, -v40
	v_fmac_f32_e32 v11, 0x3f3504f3, v42
	v_sub_f32_e32 v13, v5, v13
	v_sub_f32_e32 v46, v28, v8
	v_fma_f32 v30, v41, 2.0, -v42
	v_mov_b32_e32 v7, v6
	v_fmac_f32_e32 v11, 0xbf3504f3, v45
	v_add_f32_e32 v47, v13, v46
	v_fma_f32 v29, v29, 2.0, -v39
	v_fma_f32 v5, v5, 2.0, -v13
	v_fma_f32 v28, v28, 2.0, -v46
	v_fma_f32 v4, v4, 2.0, -v12
	v_fmac_f32_e32 v7, 0xbf3504f3, v30
	v_fma_f32 v39, v44, 2.0, -v45
	v_fma_f32 v15, v40, 2.0, -v11
	v_sub_f32_e32 v5, v29, v5
	v_sub_f32_e32 v4, v28, v4
	v_fmac_f32_e32 v7, 0xbf3504f3, v39
	v_fma_f32 v40, v46, 2.0, -v47
	v_sub_f32_e32 v9, v5, v49
	v_add_f32_e32 v8, v43, v4
	v_fma_f32 v31, v6, 2.0, -v7
	v_mov_b32_e32 v6, v40
	v_mov_b32_e32 v10, v47
	v_fma_f32 v13, v5, 2.0, -v9
	v_fma_f32 v12, v4, 2.0, -v8
	v_fmac_f32_e32 v6, 0xbf3504f3, v39
	v_fma_f32 v29, v29, 2.0, -v5
	v_fma_f32 v5, v50, 2.0, -v43
	;; [unrolled: 1-line block ×4, first 2 shown]
	v_fmac_f32_e32 v10, 0x3f3504f3, v45
	v_fmac_f32_e32 v6, 0x3f3504f3, v30
	v_sub_f32_e32 v5, v29, v5
	v_sub_f32_e32 v4, v28, v4
	v_fmac_f32_e32 v10, 0x3f3504f3, v42
	v_fma_f32 v30, v40, 2.0, -v6
	v_fma_f32 v29, v29, 2.0, -v5
	;; [unrolled: 1-line block ×3, first 2 shown]
	v_lshlrev_b32_e32 v35, 3, v35
	v_fma_f32 v14, v47, 2.0, -v10
	ds_write_b128 v35, v[28:31]
	ds_write_b128 v35, v[12:15] offset:16
	ds_write_b128 v35, v[4:7] offset:32
	;; [unrolled: 1-line block ×3, first 2 shown]
.LBB0_13:
	s_or_b64 exec, exec, s[2:3]
	s_waitcnt lgkmcnt(0)
	s_barrier
	ds_read2_b64 v[4:7], v33 offset1:216
	ds_read_b64 v[8:9], v33 offset:3456
	s_waitcnt lgkmcnt(0)
	s_barrier
	v_mul_f32_e32 v10, v1, v7
	v_mul_f32_e32 v1, v1, v6
	v_fmac_f32_e32 v10, v0, v6
	v_fma_f32 v6, v0, v7, -v1
	v_mul_f32_e32 v7, v3, v9
	v_fmac_f32_e32 v7, v2, v8
	v_mul_f32_e32 v0, v3, v8
	v_add_f32_e32 v1, v10, v7
	v_fma_f32 v3, v2, v9, -v0
	v_fma_f32 v2, -0.5, v1, v4
	v_add_f32_e32 v0, v4, v10
	v_sub_f32_e32 v1, v6, v3
	v_mov_b32_e32 v4, v2
	v_fmac_f32_e32 v4, 0xbf5db3d7, v1
	v_fmac_f32_e32 v2, 0x3f5db3d7, v1
	v_add_f32_e32 v1, v5, v6
	v_add_f32_e32 v1, v1, v3
	;; [unrolled: 1-line block ×3, first 2 shown]
	v_fma_f32 v3, -0.5, v3, v5
	v_sub_f32_e32 v6, v10, v7
	v_mov_b32_e32 v5, v3
	v_add_f32_e32 v0, v0, v7
	v_fmac_f32_e32 v5, 0x3f5db3d7, v6
	v_fmac_f32_e32 v3, 0xbf5db3d7, v6
	ds_write2_b64 v36, v[0:1], v[4:5] offset1:8
	ds_write_b64 v36, v[2:3] offset:128
	s_waitcnt lgkmcnt(0)
	s_barrier
	ds_read2_b64 v[0:3], v33 offset1:216
	ds_read_b64 v[4:5], v33 offset:3456
	s_waitcnt lgkmcnt(0)
	s_barrier
	v_mul_f32_e32 v6, v17, v3
	v_mul_f32_e32 v8, v19, v5
	v_fmac_f32_e32 v6, v16, v2
	v_mul_f32_e32 v2, v17, v2
	v_fmac_f32_e32 v8, v18, v4
	v_fma_f32 v7, v16, v3, -v2
	v_mul_f32_e32 v2, v19, v4
	v_add_f32_e32 v3, v6, v8
	v_fma_f32 v5, v18, v5, -v2
	v_add_f32_e32 v2, v0, v6
	v_fma_f32 v0, -0.5, v3, v0
	v_sub_f32_e32 v3, v7, v5
	v_mov_b32_e32 v4, v0
	v_fmac_f32_e32 v4, 0xbf5db3d7, v3
	v_fmac_f32_e32 v0, 0x3f5db3d7, v3
	v_add_f32_e32 v3, v1, v7
	v_add_f32_e32 v3, v3, v5
	;; [unrolled: 1-line block ×3, first 2 shown]
	v_fma_f32 v1, -0.5, v5, v1
	v_sub_f32_e32 v6, v6, v8
	v_mov_b32_e32 v5, v1
	v_add_f32_e32 v2, v2, v8
	v_fmac_f32_e32 v5, 0x3f5db3d7, v6
	v_fmac_f32_e32 v1, 0xbf5db3d7, v6
	ds_write2_b64 v37, v[2:3], v[4:5] offset1:24
	ds_write_b64 v37, v[0:1] offset:384
	s_waitcnt lgkmcnt(0)
	s_barrier
	ds_read2_b64 v[0:3], v33 offset1:216
	ds_read_b64 v[4:5], v33 offset:3456
	s_waitcnt lgkmcnt(0)
	s_barrier
	v_mul_f32_e32 v6, v21, v3
	v_mul_f32_e32 v8, v23, v5
	v_fmac_f32_e32 v6, v20, v2
	v_mul_f32_e32 v2, v21, v2
	v_fmac_f32_e32 v8, v22, v4
	v_fma_f32 v7, v20, v3, -v2
	v_mul_f32_e32 v2, v23, v4
	v_add_f32_e32 v3, v6, v8
	v_fma_f32 v5, v22, v5, -v2
	v_add_f32_e32 v2, v0, v6
	v_fma_f32 v0, -0.5, v3, v0
	v_sub_f32_e32 v3, v7, v5
	v_mov_b32_e32 v4, v0
	v_fmac_f32_e32 v4, 0xbf5db3d7, v3
	v_fmac_f32_e32 v0, 0x3f5db3d7, v3
	v_add_f32_e32 v3, v1, v7
	v_add_f32_e32 v3, v3, v5
	;; [unrolled: 1-line block ×3, first 2 shown]
	v_fma_f32 v1, -0.5, v5, v1
	v_sub_f32_e32 v6, v6, v8
	v_mov_b32_e32 v5, v1
	v_add_f32_e32 v2, v2, v8
	v_fmac_f32_e32 v5, 0x3f5db3d7, v6
	v_fmac_f32_e32 v1, 0xbf5db3d7, v6
	ds_write2_b64 v38, v[2:3], v[4:5] offset1:72
	ds_write_b64 v38, v[0:1] offset:1152
	s_waitcnt lgkmcnt(0)
	s_barrier
	ds_read2_b64 v[0:3], v33 offset1:216
	ds_read_b64 v[4:5], v33 offset:3456
	s_waitcnt lgkmcnt(1)
	v_mul_f32_e32 v6, v25, v3
	s_waitcnt lgkmcnt(0)
	v_mul_f32_e32 v8, v27, v5
	v_fmac_f32_e32 v6, v24, v2
	v_mul_f32_e32 v2, v25, v2
	v_fmac_f32_e32 v8, v26, v4
	v_fma_f32 v7, v24, v3, -v2
	v_mul_f32_e32 v2, v27, v4
	v_add_f32_e32 v3, v6, v8
	v_fma_f32 v5, v26, v5, -v2
	v_add_f32_e32 v2, v0, v6
	v_fma_f32 v0, -0.5, v3, v0
	v_sub_f32_e32 v3, v7, v5
	v_mov_b32_e32 v4, v0
	v_fmac_f32_e32 v4, 0xbf5db3d7, v3
	v_fmac_f32_e32 v0, 0x3f5db3d7, v3
	v_add_f32_e32 v3, v1, v7
	v_add_f32_e32 v3, v3, v5
	;; [unrolled: 1-line block ×3, first 2 shown]
	v_fma_f32 v1, -0.5, v5, v1
	v_sub_f32_e32 v6, v6, v8
	v_mov_b32_e32 v5, v1
	v_add_f32_e32 v2, v2, v8
	v_fmac_f32_e32 v5, 0x3f5db3d7, v6
	v_fmac_f32_e32 v1, 0xbf5db3d7, v6
	ds_write2_b64 v33, v[2:3], v[4:5] offset1:216
	ds_write_b64 v33, v[0:1] offset:3456
	s_waitcnt lgkmcnt(0)
	s_barrier
	s_and_b64 exec, exec, s[0:1]
	s_cbranch_execz .LBB0_15
; %bb.14:
	global_load_dwordx2 v[8:9], v33, s[10:11]
	global_load_dwordx2 v[10:11], v33, s[10:11] offset:648
	global_load_dwordx2 v[12:13], v33, s[10:11] offset:1296
	;; [unrolled: 1-line block ×3, first 2 shown]
	ds_read_b64 v[18:19], v33
	ds_read2_b64 v[0:3], v33 offset0:81 offset1:162
	global_load_dwordx2 v[22:23], v33, s[10:11] offset:2592
	global_load_dwordx2 v[24:25], v33, s[10:11] offset:3240
	;; [unrolled: 1-line block ×3, first 2 shown]
	v_mad_u64_u32 v[16:17], s[0:1], s6, v32, 0
	v_mad_u64_u32 v[20:21], s[2:3], s4, v34, 0
	v_mov_b32_e32 v4, s11
	s_mul_i32 s3, s5, 0x288
	s_mul_hi_u32 s6, s4, 0x288
	v_add_co_u32_e32 v35, vcc, s10, v33
	v_mov_b32_e32 v36, s9
	s_movk_i32 s9, 0x1000
	v_addc_co_u32_e32 v37, vcc, 0, v4, vcc
	s_add_i32 s3, s6, s3
	s_waitcnt lgkmcnt(1)
	v_mad_u64_u32 v[30:31], s[6:7], s7, v32, v[17:18]
	s_mul_i32 s2, s4, 0x288
	v_add_u32_e32 v5, 0x400, v33
	ds_read2_b64 v[4:7], v5 offset0:115 offset1:196
	v_mov_b32_e32 v17, v30
	v_lshlrev_b64 v[16:17], 3, v[16:17]
	s_mov_b32 s0, 0xfcd6e9e0
	s_mov_b32 s1, 0x3f5948b0
	v_mov_b32_e32 v38, s3
	ds_read_b64 v[28:29], v33 offset:4536
	v_mov_b32_e32 v39, s3
	s_waitcnt vmcnt(6)
	v_mul_f32_e32 v30, v19, v9
	v_mul_f32_e32 v9, v18, v9
	v_fmac_f32_e32 v30, v18, v8
	v_fma_f32 v8, v8, v19, -v9
	s_waitcnt vmcnt(2)
	v_mad_u64_u32 v[31:32], s[4:5], s5, v34, v[21:22]
	v_add_co_u32_e32 v34, vcc, s9, v35
	v_addc_co_u32_e32 v35, vcc, 0, v37, vcc
	global_load_dwordx2 v[34:35], v[34:35], off offset:440
	v_mov_b32_e32 v21, v31
	v_add_co_u32_e32 v16, vcc, s8, v16
	s_waitcnt lgkmcnt(2)
	v_mul_f32_e32 v31, v1, v11
	v_mul_f32_e32 v11, v0, v11
	;; [unrolled: 1-line block ×4, first 2 shown]
	v_addc_co_u32_e32 v17, vcc, v36, v17, vcc
	s_waitcnt lgkmcnt(1)
	v_mul_f32_e32 v36, v5, v15
	v_mul_f32_e32 v15, v4, v15
	v_fmac_f32_e32 v31, v0, v10
	v_fma_f32 v9, v10, v1, -v11
	v_fmac_f32_e32 v32, v2, v12
	v_fma_f32 v12, v12, v3, -v13
	v_cvt_f64_f32_e32 v[0:1], v30
	v_cvt_f64_f32_e32 v[2:3], v8
	v_fmac_f32_e32 v36, v4, v14
	v_fma_f32 v18, v14, v5, -v15
	v_cvt_f64_f32_e32 v[4:5], v31
	v_cvt_f64_f32_e32 v[8:9], v9
	v_mul_f64 v[0:1], v[0:1], s[0:1]
	v_mul_f64 v[2:3], v[2:3], s[0:1]
	;; [unrolled: 1-line block ×4, first 2 shown]
	v_cvt_f64_f32_e32 v[10:11], v32
	v_cvt_f64_f32_e32 v[12:13], v12
	;; [unrolled: 1-line block ×4, first 2 shown]
	v_mul_f64 v[10:11], v[10:11], s[0:1]
	v_mul_f64 v[12:13], v[12:13], s[0:1]
	v_lshlrev_b64 v[20:21], 3, v[20:21]
	v_cvt_f32_f64_e32 v0, v[0:1]
	v_cvt_f32_f64_e32 v1, v[2:3]
	v_add_co_u32_e32 v16, vcc, v16, v20
	v_cvt_f32_f64_e32 v2, v[4:5]
	v_cvt_f32_f64_e32 v3, v[8:9]
	v_addc_co_u32_e32 v17, vcc, v17, v21, vcc
	v_mul_f64 v[14:15], v[14:15], s[0:1]
	v_mul_f64 v[18:19], v[18:19], s[0:1]
	v_add_co_u32_e32 v20, vcc, s2, v16
	v_addc_co_u32_e32 v21, vcc, v17, v38, vcc
	global_store_dwordx2 v[16:17], v[0:1], off
	global_store_dwordx2 v[20:21], v[2:3], off
	v_mul_f32_e32 v0, v7, v23
	v_fmac_f32_e32 v0, v6, v22
	v_cvt_f32_f64_e32 v4, v[10:11]
	v_cvt_f32_f64_e32 v5, v[12:13]
	v_cvt_f64_f32_e32 v[10:11], v0
	v_mul_f32_e32 v0, v6, v23
	v_fma_f32 v0, v22, v7, -v0
	v_add_co_u32_e32 v8, vcc, s2, v20
	v_cvt_f64_f32_e32 v[6:7], v0
	v_add_u32_e32 v0, 0x800, v33
	v_addc_co_u32_e32 v9, vcc, v21, v39, vcc
	ds_read2_b64 v[0:3], v0 offset0:149 offset1:230
	global_store_dwordx2 v[8:9], v[4:5], off
	v_cvt_f32_f64_e32 v4, v[14:15]
	v_cvt_f32_f64_e32 v5, v[18:19]
	v_mov_b32_e32 v12, s3
	v_add_co_u32_e32 v8, vcc, s2, v8
	v_addc_co_u32_e32 v9, vcc, v9, v12, vcc
	global_store_dwordx2 v[8:9], v[4:5], off
	v_mul_f64 v[4:5], v[10:11], s[0:1]
	s_waitcnt vmcnt(6) lgkmcnt(0)
	v_mul_f32_e32 v10, v1, v25
	v_fmac_f32_e32 v10, v0, v24
	v_mul_f32_e32 v0, v0, v25
	v_fma_f32 v0, v24, v1, -v0
	v_mul_f64 v[6:7], v[6:7], s[0:1]
	v_cvt_f64_f32_e32 v[0:1], v0
	v_cvt_f64_f32_e32 v[10:11], v10
	v_cvt_f32_f64_e32 v4, v[4:5]
	v_add_co_u32_e32 v8, vcc, s2, v8
	v_mul_f64 v[0:1], v[0:1], s[0:1]
	v_cvt_f32_f64_e32 v5, v[6:7]
	v_mul_f64 v[6:7], v[10:11], s[0:1]
	v_mov_b32_e32 v10, s3
	v_addc_co_u32_e32 v9, vcc, v9, v10, vcc
	global_store_dwordx2 v[8:9], v[4:5], off
	v_cvt_f32_f64_e32 v5, v[0:1]
	s_waitcnt vmcnt(6)
	v_mul_f32_e32 v0, v3, v27
	v_fmac_f32_e32 v0, v2, v26
	v_mul_f32_e32 v2, v2, v27
	v_fma_f32 v2, v26, v3, -v2
	v_cvt_f64_f32_e32 v[0:1], v0
	v_cvt_f64_f32_e32 v[2:3], v2
	v_cvt_f32_f64_e32 v4, v[6:7]
	v_mov_b32_e32 v7, s3
	v_add_co_u32_e32 v6, vcc, s2, v8
	v_mul_f64 v[0:1], v[0:1], s[0:1]
	v_mul_f64 v[2:3], v[2:3], s[0:1]
	v_addc_co_u32_e32 v7, vcc, v9, v7, vcc
	global_store_dwordx2 v[6:7], v[4:5], off
	s_waitcnt vmcnt(6)
	v_mul_f32_e32 v4, v29, v35
	v_mul_f32_e32 v8, v28, v35
	v_fmac_f32_e32 v4, v28, v34
	v_fma_f32 v8, v34, v29, -v8
	v_cvt_f64_f32_e32 v[4:5], v4
	v_cvt_f64_f32_e32 v[8:9], v8
	v_cvt_f32_f64_e32 v0, v[0:1]
	v_cvt_f32_f64_e32 v1, v[2:3]
	v_mul_f64 v[2:3], v[4:5], s[0:1]
	v_mul_f64 v[4:5], v[8:9], s[0:1]
	v_mov_b32_e32 v8, s3
	v_add_co_u32_e32 v6, vcc, s2, v6
	v_addc_co_u32_e32 v7, vcc, v7, v8, vcc
	global_store_dwordx2 v[6:7], v[0:1], off
	v_cvt_f32_f64_e32 v0, v[2:3]
	v_cvt_f32_f64_e32 v1, v[4:5]
	v_mov_b32_e32 v3, s3
	v_add_co_u32_e32 v2, vcc, s2, v6
	v_addc_co_u32_e32 v3, vcc, v7, v3, vcc
	global_store_dwordx2 v[2:3], v[0:1], off
.LBB0_15:
	s_endpgm
	.section	.rodata,"a",@progbits
	.p2align	6, 0x0
	.amdhsa_kernel bluestein_single_back_len648_dim1_sp_op_CI_CI
		.amdhsa_group_segment_fixed_size 5184
		.amdhsa_private_segment_fixed_size 0
		.amdhsa_kernarg_size 104
		.amdhsa_user_sgpr_count 6
		.amdhsa_user_sgpr_private_segment_buffer 1
		.amdhsa_user_sgpr_dispatch_ptr 0
		.amdhsa_user_sgpr_queue_ptr 0
		.amdhsa_user_sgpr_kernarg_segment_ptr 1
		.amdhsa_user_sgpr_dispatch_id 0
		.amdhsa_user_sgpr_flat_scratch_init 0
		.amdhsa_user_sgpr_private_segment_size 0
		.amdhsa_uses_dynamic_stack 0
		.amdhsa_system_sgpr_private_segment_wavefront_offset 0
		.amdhsa_system_sgpr_workgroup_id_x 1
		.amdhsa_system_sgpr_workgroup_id_y 0
		.amdhsa_system_sgpr_workgroup_id_z 0
		.amdhsa_system_sgpr_workgroup_info 0
		.amdhsa_system_vgpr_workitem_id 0
		.amdhsa_next_free_vgpr 52
		.amdhsa_next_free_sgpr 18
		.amdhsa_reserve_vcc 1
		.amdhsa_reserve_flat_scratch 0
		.amdhsa_float_round_mode_32 0
		.amdhsa_float_round_mode_16_64 0
		.amdhsa_float_denorm_mode_32 3
		.amdhsa_float_denorm_mode_16_64 3
		.amdhsa_dx10_clamp 1
		.amdhsa_ieee_mode 1
		.amdhsa_fp16_overflow 0
		.amdhsa_exception_fp_ieee_invalid_op 0
		.amdhsa_exception_fp_denorm_src 0
		.amdhsa_exception_fp_ieee_div_zero 0
		.amdhsa_exception_fp_ieee_overflow 0
		.amdhsa_exception_fp_ieee_underflow 0
		.amdhsa_exception_fp_ieee_inexact 0
		.amdhsa_exception_int_div_zero 0
	.end_amdhsa_kernel
	.text
.Lfunc_end0:
	.size	bluestein_single_back_len648_dim1_sp_op_CI_CI, .Lfunc_end0-bluestein_single_back_len648_dim1_sp_op_CI_CI
                                        ; -- End function
	.section	.AMDGPU.csdata,"",@progbits
; Kernel info:
; codeLenInByte = 4572
; NumSgprs: 22
; NumVgprs: 52
; ScratchSize: 0
; MemoryBound: 0
; FloatMode: 240
; IeeeMode: 1
; LDSByteSize: 5184 bytes/workgroup (compile time only)
; SGPRBlocks: 2
; VGPRBlocks: 12
; NumSGPRsForWavesPerEU: 22
; NumVGPRsForWavesPerEU: 52
; Occupancy: 4
; WaveLimiterHint : 1
; COMPUTE_PGM_RSRC2:SCRATCH_EN: 0
; COMPUTE_PGM_RSRC2:USER_SGPR: 6
; COMPUTE_PGM_RSRC2:TRAP_HANDLER: 0
; COMPUTE_PGM_RSRC2:TGID_X_EN: 1
; COMPUTE_PGM_RSRC2:TGID_Y_EN: 0
; COMPUTE_PGM_RSRC2:TGID_Z_EN: 0
; COMPUTE_PGM_RSRC2:TIDIG_COMP_CNT: 0
	.type	__hip_cuid_6dea5343e6e5d818,@object ; @__hip_cuid_6dea5343e6e5d818
	.section	.bss,"aw",@nobits
	.globl	__hip_cuid_6dea5343e6e5d818
__hip_cuid_6dea5343e6e5d818:
	.byte	0                               ; 0x0
	.size	__hip_cuid_6dea5343e6e5d818, 1

	.ident	"AMD clang version 19.0.0git (https://github.com/RadeonOpenCompute/llvm-project roc-6.4.0 25133 c7fe45cf4b819c5991fe208aaa96edf142730f1d)"
	.section	".note.GNU-stack","",@progbits
	.addrsig
	.addrsig_sym __hip_cuid_6dea5343e6e5d818
	.amdgpu_metadata
---
amdhsa.kernels:
  - .args:
      - .actual_access:  read_only
        .address_space:  global
        .offset:         0
        .size:           8
        .value_kind:     global_buffer
      - .actual_access:  read_only
        .address_space:  global
        .offset:         8
        .size:           8
        .value_kind:     global_buffer
      - .actual_access:  read_only
        .address_space:  global
        .offset:         16
        .size:           8
        .value_kind:     global_buffer
      - .actual_access:  read_only
        .address_space:  global
        .offset:         24
        .size:           8
        .value_kind:     global_buffer
      - .actual_access:  read_only
        .address_space:  global
        .offset:         32
        .size:           8
        .value_kind:     global_buffer
      - .offset:         40
        .size:           8
        .value_kind:     by_value
      - .address_space:  global
        .offset:         48
        .size:           8
        .value_kind:     global_buffer
      - .address_space:  global
        .offset:         56
        .size:           8
        .value_kind:     global_buffer
      - .address_space:  global
        .offset:         64
        .size:           8
        .value_kind:     global_buffer
      - .address_space:  global
        .offset:         72
        .size:           8
        .value_kind:     global_buffer
      - .offset:         80
        .size:           4
        .value_kind:     by_value
      - .address_space:  global
        .offset:         88
        .size:           8
        .value_kind:     global_buffer
      - .address_space:  global
        .offset:         96
        .size:           8
        .value_kind:     global_buffer
    .group_segment_fixed_size: 5184
    .kernarg_segment_align: 8
    .kernarg_segment_size: 104
    .language:       OpenCL C
    .language_version:
      - 2
      - 0
    .max_flat_workgroup_size: 216
    .name:           bluestein_single_back_len648_dim1_sp_op_CI_CI
    .private_segment_fixed_size: 0
    .sgpr_count:     22
    .sgpr_spill_count: 0
    .symbol:         bluestein_single_back_len648_dim1_sp_op_CI_CI.kd
    .uniform_work_group_size: 1
    .uses_dynamic_stack: false
    .vgpr_count:     52
    .vgpr_spill_count: 0
    .wavefront_size: 64
amdhsa.target:   amdgcn-amd-amdhsa--gfx906
amdhsa.version:
  - 1
  - 2
...

	.end_amdgpu_metadata
